;; amdgpu-corpus repo=ROCm/rocFFT kind=compiled arch=gfx906 opt=O3
	.text
	.amdgcn_target "amdgcn-amd-amdhsa--gfx906"
	.amdhsa_code_object_version 6
	.protected	fft_rtc_fwd_len160_factors_2_4_4_5_wgs_200_tpt_10_halfLds_dim2_sp_ip_CI_sbcc_twdbase8_2step_dirReg_intrinsicReadWrite ; -- Begin function fft_rtc_fwd_len160_factors_2_4_4_5_wgs_200_tpt_10_halfLds_dim2_sp_ip_CI_sbcc_twdbase8_2step_dirReg_intrinsicReadWrite
	.globl	fft_rtc_fwd_len160_factors_2_4_4_5_wgs_200_tpt_10_halfLds_dim2_sp_ip_CI_sbcc_twdbase8_2step_dirReg_intrinsicReadWrite
	.p2align	8
	.type	fft_rtc_fwd_len160_factors_2_4_4_5_wgs_200_tpt_10_halfLds_dim2_sp_ip_CI_sbcc_twdbase8_2step_dirReg_intrinsicReadWrite,@function
fft_rtc_fwd_len160_factors_2_4_4_5_wgs_200_tpt_10_halfLds_dim2_sp_ip_CI_sbcc_twdbase8_2step_dirReg_intrinsicReadWrite: ; @fft_rtc_fwd_len160_factors_2_4_4_5_wgs_200_tpt_10_halfLds_dim2_sp_ip_CI_sbcc_twdbase8_2step_dirReg_intrinsicReadWrite
; %bb.0:
	s_load_dwordx4 s[0:3], s[4:5], 0x10
	s_mov_b32 s7, 0
	s_waitcnt lgkmcnt(0)
	s_load_dwordx2 s[10:11], s[0:1], 0x8
	s_load_dwordx2 s[14:15], s[4:5], 0x0
	;; [unrolled: 1-line block ×4, first 2 shown]
	s_waitcnt lgkmcnt(0)
	s_add_u32 s0, s10, -1
	s_addc_u32 s1, s11, -1
	s_add_u32 s13, 0, 0xcccc3000
	s_addc_u32 s16, 0, 44
	s_add_i32 s16, s16, 0xccccca0
	s_mul_hi_u32 s20, s13, 0xffffffec
	s_sub_i32 s20, s20, s13
	s_mul_i32 s21, s16, 0xffffffec
	s_mul_i32 s17, s13, 0xffffffec
	s_add_i32 s20, s20, s21
	s_mul_hi_u32 s18, s16, s17
	s_mul_i32 s19, s16, s17
	s_mul_i32 s22, s13, s20
	s_mul_hi_u32 s17, s13, s17
	s_mul_hi_u32 s21, s13, s20
	s_add_u32 s17, s17, s22
	s_addc_u32 s21, 0, s21
	s_add_u32 s17, s17, s19
	s_mul_hi_u32 s22, s16, s20
	s_addc_u32 s17, s21, s18
	s_addc_u32 s18, s22, 0
	s_mul_i32 s19, s16, s20
	s_add_u32 s17, s17, s19
	v_mov_b32_e32 v1, s17
	s_addc_u32 s18, 0, s18
	v_add_co_u32_e32 v1, vcc, s13, v1
	s_cmp_lg_u64 vcc, 0
	s_addc_u32 s13, s16, s18
	v_readfirstlane_b32 s18, v1
	s_mul_i32 s17, s0, s13
	s_mul_hi_u32 s19, s0, s18
	s_mul_hi_u32 s16, s0, s13
	s_add_u32 s17, s19, s17
	s_addc_u32 s16, 0, s16
	s_mul_hi_u32 s20, s1, s18
	s_mul_i32 s18, s1, s18
	s_add_u32 s17, s17, s18
	s_mul_hi_u32 s19, s1, s13
	s_addc_u32 s16, s16, s20
	s_addc_u32 s17, s19, 0
	s_mul_i32 s13, s1, s13
	s_add_u32 s13, s16, s13
	s_addc_u32 s16, 0, s17
	s_add_u32 s17, s13, 1
	s_addc_u32 s18, s16, 0
	s_add_u32 s19, s13, 2
	s_mul_i32 s21, s16, 20
	s_mul_hi_u32 s22, s13, 20
	s_addc_u32 s20, s16, 0
	s_add_i32 s22, s22, s21
	s_mul_i32 s21, s13, 20
	v_mov_b32_e32 v1, s21
	v_sub_co_u32_e32 v1, vcc, s0, v1
	s_cmp_lg_u64 vcc, 0
	s_subb_u32 s0, s1, s22
	v_subrev_co_u32_e32 v2, vcc, 20, v1
	s_cmp_lg_u64 vcc, 0
	s_subb_u32 s1, s0, 0
	v_readfirstlane_b32 s21, v2
	s_cmp_gt_u32 s21, 19
	s_cselect_b32 s21, -1, 0
	s_cmp_eq_u32 s1, 0
	s_cselect_b32 s1, s21, -1
	s_cmp_lg_u32 s1, 0
	s_cselect_b32 s1, s19, s17
	s_cselect_b32 s17, s20, s18
	v_readfirstlane_b32 s18, v1
	s_cmp_gt_u32 s18, 19
	s_cselect_b32 s18, -1, 0
	s_cmp_eq_u32 s0, 0
	s_cselect_b32 s0, s18, -1
	s_cmp_lg_u32 s0, 0
	s_cselect_b32 s0, s1, s13
	s_cselect_b32 s16, s17, s16
	s_add_u32 s0, s0, 1
	s_addc_u32 s1, s16, 0
	v_mov_b32_e32 v2, s1
	v_mov_b32_e32 v1, s0
	v_cmp_lt_u64_e32 vcc, s[6:7], v[1:2]
	s_mov_b64 s[16:17], 0
	s_cbranch_vccnz .LBB0_2
; %bb.1:
	v_cvt_f32_u32_e32 v1, s0
	s_sub_i32 s7, 0, s0
	v_rcp_iflag_f32_e32 v1, v1
	v_mul_f32_e32 v1, 0x4f7ffffe, v1
	v_cvt_u32_f32_e32 v1, v1
	v_readfirstlane_b32 s13, v1
	s_mul_i32 s7, s7, s13
	s_mul_hi_u32 s7, s13, s7
	s_add_i32 s13, s13, s7
	s_mul_hi_u32 s7, s6, s13
	s_mul_i32 s16, s7, s0
	s_sub_i32 s16, s6, s16
	s_add_i32 s13, s7, 1
	s_sub_i32 s17, s16, s0
	s_cmp_ge_u32 s16, s0
	s_cselect_b32 s7, s13, s7
	s_cselect_b32 s16, s17, s16
	s_add_i32 s13, s7, 1
	s_cmp_ge_u32 s16, s0
	s_cselect_b32 s16, s13, s7
.LBB0_2:
	s_mul_i32 s1, s16, s1
	s_mul_hi_u32 s7, s16, s0
	s_add_i32 s7, s7, s1
	s_mul_i32 s0, s16, s0
	s_sub_u32 s6, s6, s0
	s_load_dwordx4 s[0:3], s[2:3], 0x8
	v_mul_u32_u24_e32 v1, 0xccd, v0
	s_subb_u32 s7, 0, s7
	s_waitcnt lgkmcnt(0)
	s_mul_i32 s3, s6, 20
	v_lshrrev_b32_e32 v43, 16, v1
	s_mul_i32 s7, s7, 20
	s_mul_hi_u32 s1, s6, 20
	s_mul_i32 s6, s3, s0
	s_mul_i32 s2, s2, s16
	v_mul_lo_u16_e32 v2, 20, v43
	s_add_i32 s1, s1, s7
	s_add_i32 s6, s2, s6
	v_sub_u16_e32 v16, v0, v2
	v_mov_b32_e32 v2, s1
	v_add_co_u32_e32 v19, vcc, s3, v16
	s_add_u32 s2, s3, 20
	v_addc_co_u32_e32 v20, vcc, 0, v2, vcc
	s_addc_u32 s3, s1, 0
	v_mad_u64_u32 v[17:18], s[0:1], s0, v16, 0
	v_mul_lo_u32 v4, s12, v43
	v_mov_b32_e32 v2, s10
	v_mov_b32_e32 v3, s11
	v_cmp_le_u64_e32 vcc, s[2:3], v[2:3]
	v_cmp_gt_u64_e64 s[0:1], s[10:11], v[19:20]
	v_add_lshl_u32 v2, v17, v4, 3
	s_or_b64 s[2:3], vcc, s[0:1]
	v_cndmask_b32_e64 v10, -1, v2, s[2:3]
	v_or_b32_e32 v2, 0x50, v43
	v_mul_lo_u32 v2, s12, v2
	v_add_u32_e32 v46, 10, v43
	v_mul_lo_u32 v18, s12, v46
	v_add_u32_e32 v3, 0x5a, v43
	v_mul_lo_u32 v3, s12, v3
	v_add_lshl_u32 v2, v17, v2, 3
	v_cndmask_b32_e64 v11, -1, v2, s[2:3]
	v_add_lshl_u32 v2, v17, v18, 3
	s_lshl_b32 s13, s6, 3
	s_mov_b32 s11, 0x20000
	s_mov_b32 s10, -2
	v_cndmask_b32_e64 v12, -1, v2, s[2:3]
	v_add_lshl_u32 v2, v17, v3, 3
	v_cndmask_b32_e64 v13, -1, v2, s[2:3]
	buffer_load_dwordx2 v[2:3], v10, s[8:11], s13 offen
	buffer_load_dwordx2 v[4:5], v11, s[8:11], s13 offen
	;; [unrolled: 1-line block ×4, first 2 shown]
	v_add_u32_e32 v10, 0x64, v43
	v_add_u32_e32 v45, 20, v43
	v_mul_lo_u32 v10, s12, v10
	v_add_u32_e32 v11, 0x6e, v43
	v_mul_lo_u32 v12, s12, v45
	;; [unrolled: 2-line block ×3, first 2 shown]
	v_mul_lo_u32 v11, s12, v11
	v_add_lshl_u32 v12, v17, v12, 3
	v_add_lshl_u32 v10, v17, v10, 3
	v_add_u32_e32 v27, 40, v43
	v_add_lshl_u32 v13, v17, v13, 3
	v_add_lshl_u32 v11, v17, v11, 3
	v_cndmask_b32_e64 v22, -1, v12, s[2:3]
	v_cndmask_b32_e64 v23, -1, v10, s[2:3]
	v_mul_lo_u32 v26, s12, v27
	v_add_u32_e32 v10, 0x78, v43
	v_cndmask_b32_e64 v24, -1, v13, s[2:3]
	v_cndmask_b32_e64 v25, -1, v11, s[2:3]
	v_mul_lo_u32 v28, s12, v10
	buffer_load_dwordx2 v[10:11], v22, s[8:11], s13 offen
	buffer_load_dwordx2 v[12:13], v23, s[8:11], s13 offen
	;; [unrolled: 1-line block ×4, first 2 shown]
	v_add_u32_e32 v23, 50, v43
	v_mul_lo_u32 v23, s12, v23
	v_add_u32_e32 v24, 0x82, v43
	v_mul_lo_u32 v24, s12, v24
	v_add_lshl_u32 v22, v17, v26, 3
	v_cndmask_b32_e64 v26, -1, v22, s[2:3]
	v_add_lshl_u32 v22, v17, v28, 3
	v_cndmask_b32_e64 v28, -1, v22, s[2:3]
	v_add_lshl_u32 v22, v17, v23, 3
	v_cndmask_b32_e64 v29, -1, v22, s[2:3]
	v_add_lshl_u32 v22, v17, v24, 3
	v_cndmask_b32_e64 v30, -1, v22, s[2:3]
	v_add_u32_e32 v22, 60, v43
	v_mul_lo_u32 v35, s12, v22
	v_add_u32_e32 v22, 0x8c, v43
	v_mul_lo_u32 v36, s12, v22
	buffer_load_dwordx2 v[22:23], v26, s[8:11], s13 offen
	buffer_load_dwordx2 v[24:25], v28, s[8:11], s13 offen
	;; [unrolled: 1-line block ×4, first 2 shown]
	v_add_u32_e32 v29, 0x46, v43
	v_mul_lo_u32 v29, s12, v29
	v_add_u32_e32 v30, 0x96, v43
	v_mul_lo_u32 v30, s12, v30
	v_add_lshl_u32 v26, v17, v35, 3
	v_cndmask_b32_e64 v26, -1, v26, s[2:3]
	v_add_lshl_u32 v28, v17, v36, 3
	v_cndmask_b32_e64 v28, -1, v28, s[2:3]
	v_add_lshl_u32 v29, v17, v29, 3
	buffer_load_dwordx2 v[35:36], v26, s[8:11], s13 offen
	buffer_load_dwordx2 v[37:38], v28, s[8:11], s13 offen
	v_cndmask_b32_e64 v29, -1, v29, s[2:3]
	v_add_lshl_u32 v26, v17, v30, 3
	v_cndmask_b32_e64 v26, -1, v26, s[2:3]
	buffer_load_dwordx2 v[39:40], v29, s[8:11], s13 offen
	buffer_load_dwordx2 v[41:42], v26, s[8:11], s13 offen
	v_mul_u32_u24_e32 v28, 0xa0, v43
	v_lshlrev_b32_e32 v26, 2, v16
	v_add3_u32 v16, 0, v28, v26
	s_movk_i32 s7, 0x1900
	s_movk_i32 s6, 0xffb0
	v_mad_i32_i24 v49, v43, s6, v16
	v_add_u32_e32 v28, 0x1580, v49
	v_add_u32_e32 v30, 0xf00, v49
	;; [unrolled: 1-line block ×3, first 2 shown]
	s_movk_i32 s6, 0x78
	v_and_b32_e32 v63, 7, v46
	v_and_b32_e32 v67, 7, v45
	;; [unrolled: 1-line block ×3, first 2 shown]
	v_add_u32_e32 v79, 0x1400, v49
	v_add_u32_e32 v80, 0x1a40, v49
	v_add_u32_e32 v77, 0xd00, v49
	v_add_u32_e32 v78, 0x2100, v49
	s_waitcnt vmcnt(14)
	v_sub_f32_e32 v4, v2, v4
	v_fma_f32 v2, v2, 2.0, -v4
	ds_write2_b32 v16, v2, v4 offset1:20
	s_waitcnt vmcnt(12)
	v_sub_f32_e32 v4, v6, v8
	v_add_u32_e32 v2, 0x400, v16
	v_fma_f32 v6, v6, 2.0, -v4
	ds_write2_b32 v2, v6, v4 offset0:144 offset1:164
	v_add_u32_e32 v4, 0xc00, v16
	v_sub_f32_e32 v5, v3, v5
	v_fma_f32 v3, v3, 2.0, -v5
	s_waitcnt vmcnt(10)
	v_sub_f32_e32 v6, v10, v12
	v_fma_f32 v8, v10, 2.0, -v6
	ds_write2_b32 v4, v8, v6 offset0:32 offset1:52
	s_waitcnt vmcnt(8)
	v_sub_f32_e32 v8, v14, v20
	v_add_u32_e32 v6, 0x1000, v16
	v_fma_f32 v10, v14, 2.0, -v8
	ds_write2_b32 v6, v10, v8 offset0:176 offset1:196
	v_add_u32_e32 v12, 0x1800, v16
	v_add_u32_e32 v14, 0x1c00, v16
	;; [unrolled: 1-line block ×3, first 2 shown]
	s_waitcnt vmcnt(6)
	v_sub_f32_e32 v8, v22, v24
	v_fma_f32 v10, v22, 2.0, -v8
	ds_write2_b32 v12, v10, v8 offset0:64 offset1:84
	s_waitcnt vmcnt(4)
	v_sub_f32_e32 v8, v31, v33
	v_fma_f32 v10, v31, 2.0, -v8
	ds_write2_b32 v14, v10, v8 offset0:208 offset1:228
	v_add_u32_e32 v22, 0x2a00, v16
	v_add_u32_e32 v31, 0x2200, v49
	s_waitcnt vmcnt(2)
	v_sub_f32_e32 v8, v35, v37
	v_fma_f32 v10, v35, 2.0, -v8
	ds_write2_b32 v20, v10, v8 offset0:96 offset1:116
	s_waitcnt vmcnt(0)
	v_sub_f32_e32 v8, v39, v41
	v_fma_f32 v10, v39, 2.0, -v8
	ds_write2_b32 v22, v10, v8 offset0:112 offset1:132
	v_mul_i32_i24_e32 v8, 0xffffffb0, v27
	v_add3_u32 v29, v16, s7, v8
	v_add_u32_e32 v50, 0xfffff6a0, v29
	s_waitcnt lgkmcnt(0)
	s_barrier
	ds_read_b32 v24, v29
	v_add_u32_e32 v27, 0x1c00, v49
	ds_read_b32 v33, v50 offset:1600
	ds_read_b32 v35, v49
	ds_read_b32 v37, v49 offset:12000
	ds_read2_b32 v[47:48], v28 offset0:24 offset1:224
	ds_read2_b32 v[52:53], v31 offset0:24 offset1:224
	ds_read2_b32 v[54:55], v50 offset1:200
	ds_read2_b32 v[56:57], v30 offset0:40 offset1:240
	ds_read2_b32 v[58:59], v27 offset0:8 offset1:208
	;; [unrolled: 1-line block ×3, first 2 shown]
	s_waitcnt lgkmcnt(0)
	s_barrier
	ds_write2_b32 v16, v3, v5 offset1:20
	v_sub_f32_e32 v3, v7, v9
	v_fma_f32 v5, v7, 2.0, -v3
	ds_write2_b32 v2, v5, v3 offset0:144 offset1:164
	v_sub_f32_e32 v2, v11, v13
	v_fma_f32 v3, v11, 2.0, -v2
	ds_write2_b32 v4, v3, v2 offset0:32 offset1:52
	;; [unrolled: 3-line block ×6, first 2 shown]
	v_sub_f32_e32 v2, v40, v42
	v_fma_f32 v3, v40, 2.0, -v2
	v_bfe_u32 v12, v1, 16, 1
	ds_write2_b32 v22, v3, v2 offset0:112 offset1:132
	v_mul_u32_u24_e32 v2, 3, v12
	v_lshlrev_b32_e32 v8, 3, v2
	s_waitcnt lgkmcnt(0)
	s_barrier
	global_load_dwordx4 v[2:5], v8, s[14:15]
	global_load_dwordx2 v[6:7], v8, s[14:15] offset:16
	ds_read2_b32 v[8:9], v30 offset0:40 offset1:240
	ds_read_b32 v23, v29
	ds_read_b32 v40, v49 offset:12000
	ds_read_b32 v42, v49
	s_waitcnt vmcnt(1) lgkmcnt(3)
	v_mul_f32_e32 v10, v8, v3
	v_fma_f32 v13, v56, v2, -v10
	v_mul_f32_e32 v10, v9, v3
	v_fma_f32 v14, v57, v2, -v10
	ds_read2_b32 v[10:11], v27 offset0:8 offset1:208
	v_mul_f32_e32 v15, v56, v3
	v_fmac_f32_e32 v15, v8, v2
	v_mul_f32_e32 v16, v57, v3
	v_fmac_f32_e32 v16, v9, v2
	s_waitcnt lgkmcnt(0)
	v_mul_f32_e32 v8, v10, v5
	v_fma_f32 v20, v58, v4, -v8
	v_mul_f32_e32 v8, v11, v5
	v_fma_f32 v21, v59, v4, -v8
	ds_read2_b32 v[8:9], v28 offset0:24 offset1:224
	v_mul_f32_e32 v36, v58, v5
	v_mul_f32_e32 v38, v59, v5
	v_mul_f32_e32 v22, v48, v5
	v_mul_f32_e32 v39, v47, v3
	v_fmac_f32_e32 v36, v10, v4
	v_fmac_f32_e32 v38, v11, v4
	s_waitcnt lgkmcnt(0)
	v_mul_f32_e32 v10, v9, v5
	v_mul_f32_e32 v11, v8, v3
	v_fmac_f32_e32 v22, v9, v4
	v_fmac_f32_e32 v39, v8, v2
	ds_read2_b32 v[8:9], v31 offset0:24 offset1:224
	v_mul_f32_e32 v25, v23, v3
	v_fma_f32 v25, v24, v2, -v25
	v_mul_f32_e32 v24, v24, v3
	v_fma_f32 v11, v47, v2, -v11
	v_fmac_f32_e32 v24, v23, v2
	s_waitcnt lgkmcnt(0)
	v_mul_f32_e32 v2, v8, v5
	v_fma_f32 v23, v52, v4, -v2
	ds_read2_b32 v[2:3], v51 offset0:40 offset1:240
	v_mul_f32_e32 v5, v52, v5
	v_fma_f32 v10, v48, v4, -v10
	v_fmac_f32_e32 v5, v8, v4
	s_waitcnt vmcnt(0)
	v_mul_f32_e32 v4, v9, v7
	v_mul_f32_e32 v8, v53, v7
	;; [unrolled: 1-line block ×3, first 2 shown]
	v_fma_f32 v4, v53, v6, -v4
	v_fmac_f32_e32 v8, v9, v6
	s_waitcnt lgkmcnt(0)
	v_mul_f32_e32 v9, v2, v7
	v_fmac_f32_e32 v34, v2, v6
	v_mul_f32_e32 v2, v40, v7
	v_mul_f32_e32 v32, v3, v7
	;; [unrolled: 1-line block ×3, first 2 shown]
	v_fma_f32 v47, v37, v6, -v2
	v_mul_f32_e32 v7, v37, v7
	v_sub_f32_e32 v2, v35, v10
	v_sub_f32_e32 v4, v25, v4
	v_lshlrev_b32_e32 v53, 2, v43
	v_fma_f32 v9, v60, v6, -v9
	v_fma_f32 v32, v61, v6, -v32
	v_fmac_f32_e32 v41, v3, v6
	v_fmac_f32_e32 v7, v40, v6
	v_fma_f32 v3, v35, 2.0, -v2
	v_sub_f32_e32 v6, v24, v8
	v_fma_f32 v8, v25, 2.0, -v4
	v_and_or_b32 v40, v53, 56, v12
	v_sub_f32_e32 v8, v3, v8
	v_sub_f32_e32 v25, v2, v6
	v_mul_u32_u24_e32 v40, 0x50, v40
	v_fma_f32 v10, v3, 2.0, -v8
	v_fma_f32 v35, v2, 2.0, -v25
	v_add3_u32 v40, 0, v40, v26
	ds_read_b32 v37, v50 offset:1600
	ds_read2_b32 v[2:3], v50 offset1:200
	s_waitcnt lgkmcnt(0)
	s_barrier
	ds_write2_b32 v40, v10, v35 offset1:40
	ds_write2_b32 v40, v8, v25 offset0:80 offset1:120
	v_sub_f32_e32 v8, v54, v20
	v_sub_f32_e32 v9, v13, v9
	v_lshlrev_b32_e32 v52, 2, v46
	v_sub_f32_e32 v10, v15, v34
	v_fma_f32 v13, v13, 2.0, -v9
	v_fma_f32 v20, v54, 2.0, -v8
	v_and_or_b32 v34, v52, s6, v12
	v_sub_f32_e32 v13, v20, v13
	v_sub_f32_e32 v25, v8, v10
	v_mul_u32_u24_e32 v34, 0x50, v34
	v_fma_f32 v20, v20, 2.0, -v13
	v_fma_f32 v8, v8, 2.0, -v25
	v_add3_u32 v54, 0, v34, v26
	ds_write2_b32 v54, v20, v8 offset1:40
	ds_write2_b32 v54, v13, v25 offset0:80 offset1:120
	v_sub_f32_e32 v8, v55, v21
	v_fma_f32 v13, v55, 2.0, -v8
	v_sub_f32_e32 v55, v14, v32
	s_movk_i32 s6, 0xf8
	v_lshlrev_b32_e32 v48, 2, v45
	v_sub_f32_e32 v41, v16, v41
	v_fma_f32 v14, v14, 2.0, -v55
	v_and_or_b32 v21, v48, s6, v12
	v_sub_f32_e32 v14, v13, v14
	v_sub_f32_e32 v20, v8, v41
	v_mul_u32_u24_e32 v21, 0x50, v21
	v_fma_f32 v13, v13, 2.0, -v14
	v_fma_f32 v8, v8, 2.0, -v20
	v_add3_u32 v56, 0, v21, v26
	ds_write2_b32 v56, v13, v8 offset1:40
	ds_write2_b32 v56, v14, v20 offset0:80 offset1:120
	v_sub_f32_e32 v8, v33, v23
	v_sub_f32_e32 v57, v11, v47
	v_lshlrev_b32_e32 v47, 2, v44
	v_fma_f32 v13, v33, 2.0, -v8
	v_sub_f32_e32 v7, v39, v7
	v_fma_f32 v11, v11, 2.0, -v57
	v_and_or_b32 v12, v47, s6, v12
	v_sub_f32_e32 v11, v13, v11
	v_sub_f32_e32 v14, v8, v7
	v_mul_u32_u24_e32 v12, 0x50, v12
	v_fma_f32 v13, v13, 2.0, -v11
	v_fma_f32 v8, v8, 2.0, -v14
	v_add3_u32 v12, 0, v12, v26
	ds_write2_b32 v12, v13, v8 offset1:40
	ds_write2_b32 v12, v11, v14 offset0:80 offset1:120
	v_sub_f32_e32 v8, v42, v22
	v_fma_f32 v6, v24, 2.0, -v6
	v_fma_f32 v11, v42, 2.0, -v8
	v_sub_f32_e32 v6, v11, v6
	v_add_f32_e32 v4, v8, v4
	v_fma_f32 v11, v11, 2.0, -v6
	v_fma_f32 v8, v8, 2.0, -v4
	s_waitcnt lgkmcnt(0)
	s_barrier
	ds_read_b32 v42, v29
	ds_read_b32 v72, v50 offset:1600
	ds_read_b32 v59, v49
	ds_read_b32 v58, v49 offset:12000
	ds_read2_b32 v[24:25], v28 offset0:24 offset1:224
	ds_read2_b32 v[20:21], v31 offset0:24 offset1:224
	ds_read2_b32 v[32:33], v50 offset1:200
	ds_read2_b32 v[34:35], v30 offset0:40 offset1:240
	ds_read2_b32 v[22:23], v27 offset0:8 offset1:208
	;; [unrolled: 1-line block ×3, first 2 shown]
	s_waitcnt lgkmcnt(0)
	s_barrier
	ds_write2_b32 v40, v11, v8 offset1:40
	ds_write2_b32 v40, v6, v4 offset0:80 offset1:120
	v_sub_f32_e32 v6, v2, v36
	v_fma_f32 v4, v15, 2.0, -v10
	v_fma_f32 v2, v2, 2.0, -v6
	v_sub_f32_e32 v4, v2, v4
	v_add_f32_e32 v8, v6, v9
	v_fma_f32 v2, v2, 2.0, -v4
	v_fma_f32 v6, v6, 2.0, -v8
	ds_write2_b32 v54, v2, v6 offset1:40
	ds_write2_b32 v54, v4, v8 offset0:80 offset1:120
	v_sub_f32_e32 v2, v3, v38
	v_fma_f32 v3, v3, 2.0, -v2
	v_fma_f32 v4, v16, 2.0, -v41
	v_sub_f32_e32 v4, v3, v4
	v_add_f32_e32 v6, v2, v55
	v_fma_f32 v3, v3, 2.0, -v4
	v_fma_f32 v2, v2, 2.0, -v6
	;; [unrolled: 9-line block ×3, first 2 shown]
	ds_write2_b32 v12, v4, v3 offset1:40
	ds_write2_b32 v12, v2, v5 offset0:80 offset1:120
	v_mul_u32_u24_e32 v2, 3, v63
	v_lshlrev_b32_e32 v54, 3, v2
	v_mul_u32_u24_e32 v2, 3, v67
	s_waitcnt lgkmcnt(0)
	s_barrier
	global_load_dwordx2 v[15:16], v54, s[14:15] offset:64
	v_lshlrev_b32_e32 v55, 3, v2
	global_load_dwordx2 v[36:37], v55, s[14:15] offset:64
	v_mul_u32_u24_e32 v2, 3, v69
	v_lshlrev_b32_e32 v56, 3, v2
	global_load_dwordx2 v[38:39], v56, s[14:15] offset:64
	v_bfe_u32 v61, v1, 16, 3
	v_mul_u32_u24_e32 v1, 3, v61
	v_lshlrev_b32_e32 v57, 3, v1
	global_load_dwordx2 v[40:41], v57, s[14:15] offset:64
	global_load_dwordx4 v[1:4], v54, s[14:15] offset:48
	global_load_dwordx4 v[5:8], v55, s[14:15] offset:48
	;; [unrolled: 1-line block ×3, first 2 shown]
	ds_read2_b32 v[54:55], v51 offset0:40 offset1:240
	s_movk_i32 s6, 0x60
	s_waitcnt vmcnt(6) lgkmcnt(0)
	v_mul_f32_e32 v57, v54, v16
	v_fma_f32 v64, v13, v15, -v57
	v_mul_f32_e32 v66, v13, v16
	s_waitcnt vmcnt(5)
	v_mul_f32_e32 v13, v55, v37
	v_fmac_f32_e32 v66, v54, v15
	v_fma_f32 v54, v14, v36, -v13
	v_mul_f32_e32 v68, v14, v37
	global_load_dwordx4 v[13:16], v56, s[14:15] offset:48
	ds_read_b32 v57, v49 offset:12000
	v_fmac_f32_e32 v68, v55, v36
	ds_read_b32 v55, v49
	ds_read2_b32 v[36:37], v31 offset0:24 offset1:224
	ds_read2_b32 v[30:31], v30 offset0:40 offset1:240
	s_waitcnt vmcnt(5) lgkmcnt(3)
	v_mul_f32_e32 v56, v57, v39
	v_mul_f32_e32 v75, v58, v39
	v_fma_f32 v74, v58, v38, -v56
	v_fmac_f32_e32 v75, v57, v38
	s_waitcnt vmcnt(4) lgkmcnt(1)
	v_mul_f32_e32 v38, v37, v41
	v_mul_f32_e32 v41, v21, v41
	v_fma_f32 v38, v21, v40, -v38
	v_fmac_f32_e32 v41, v37, v40
	s_waitcnt vmcnt(3) lgkmcnt(0)
	v_mul_f32_e32 v21, v30, v2
	v_mul_f32_e32 v56, v34, v2
	ds_read_b32 v2, v29
	ds_read2_b32 v[39:40], v28 offset0:24 offset1:224
	s_waitcnt vmcnt(1)
	v_mul_f32_e32 v58, v42, v10
	v_fma_f32 v70, v34, v1, -v21
	v_fmac_f32_e32 v56, v30, v1
	s_waitcnt lgkmcnt(1)
	v_mul_f32_e32 v1, v2, v10
	v_fmac_f32_e32 v58, v2, v9
	s_waitcnt lgkmcnt(0)
	v_mul_f32_e32 v2, v40, v12
	v_mul_f32_e32 v21, v31, v6
	v_fma_f32 v2, v25, v11, -v2
	v_fma_f32 v73, v35, v5, -v21
	v_mul_f32_e32 v21, v35, v6
	v_fma_f32 v1, v42, v9, -v1
	v_sub_f32_e32 v2, v59, v2
	v_and_or_b32 v9, v53, 32, v61
	v_fmac_f32_e32 v21, v31, v5
	v_fma_f32 v5, v59, 2.0, -v2
	v_sub_f32_e32 v59, v1, v38
	v_sub_f32_e32 v60, v58, v41
	ds_read2_b32 v[41:42], v27 offset0:8 offset1:208
	ds_read_b32 v57, v50 offset:1600
	ds_read2_b32 v[37:38], v50 offset1:200
	v_mul_u32_u24_e32 v9, 0x50, v9
	v_fma_f32 v1, v1, 2.0, -v59
	v_add3_u32 v61, 0, v9, v26
	v_sub_f32_e32 v1, v5, v1
	v_sub_f32_e32 v6, v2, v60
	v_add_u32_e32 v62, 0x400, v61
	v_fma_f32 v5, v5, 2.0, -v1
	s_waitcnt vmcnt(0) lgkmcnt(0)
	s_barrier
	ds_write2_b32 v62, v1, v6 offset0:64 offset1:224
	v_mul_f32_e32 v1, v41, v4
	v_fma_f32 v1, v22, v3, -v1
	v_fma_f32 v2, v2, 2.0, -v6
	v_sub_f32_e32 v1, v32, v1
	v_sub_f32_e32 v65, v70, v64
	ds_write2_b32 v61, v5, v2 offset1:160
	v_sub_f32_e32 v66, v56, v66
	v_fma_f32 v2, v70, 2.0, -v65
	v_fma_f32 v5, v32, 2.0, -v1
	v_and_or_b32 v9, v52, s6, v63
	v_sub_f32_e32 v2, v5, v2
	v_sub_f32_e32 v6, v1, v66
	v_mul_u32_u24_e32 v9, 0x50, v9
	v_fma_f32 v5, v5, 2.0, -v2
	v_fma_f32 v1, v1, 2.0, -v6
	v_add3_u32 v63, 0, v9, v26
	ds_write2_b32 v63, v5, v1 offset1:160
	v_mul_f32_e32 v1, v42, v8
	v_fma_f32 v1, v23, v7, -v1
	v_add_u32_e32 v64, 0x400, v63
	v_sub_f32_e32 v1, v33, v1
	v_sub_f32_e32 v70, v73, v54
	s_movk_i32 s6, 0xe0
	ds_write2_b32 v64, v2, v6 offset0:64 offset1:224
	v_fma_f32 v2, v33, 2.0, -v1
	v_sub_f32_e32 v71, v21, v68
	v_fma_f32 v5, v73, 2.0, -v70
	v_and_or_b32 v9, v48, s6, v67
	v_sub_f32_e32 v5, v2, v5
	v_sub_f32_e32 v6, v1, v71
	v_mul_u32_u24_e32 v9, 0x50, v9
	v_fma_f32 v2, v2, 2.0, -v5
	v_fma_f32 v1, v1, 2.0, -v6
	v_add3_u32 v67, 0, v9, v26
	ds_write2_b32 v67, v2, v1 offset1:160
	v_and_or_b32 v1, v47, s6, v69
	v_mul_u32_u24_e32 v1, 0x50, v1
	v_add3_u32 v69, 0, v1, v26
	v_mul_f32_e32 v1, v39, v14
	v_mul_f32_e32 v2, v36, v16
	v_fma_f32 v1, v24, v13, -v1
	v_mul_f32_e32 v73, v24, v14
	v_fma_f32 v2, v20, v15, -v2
	v_add_u32_e32 v68, 0x400, v67
	v_fmac_f32_e32 v73, v39, v13
	v_sub_f32_e32 v2, v72, v2
	v_sub_f32_e32 v74, v1, v74
	ds_write2_b32 v68, v5, v6 offset0:64 offset1:224
	v_fma_f32 v5, v72, 2.0, -v2
	v_sub_f32_e32 v76, v73, v75
	v_fma_f32 v1, v1, 2.0, -v74
	v_sub_f32_e32 v1, v5, v1
	v_sub_f32_e32 v39, v2, v76
	v_fma_f32 v5, v5, 2.0, -v1
	v_fma_f32 v2, v2, 2.0, -v39
	v_add_u32_e32 v24, 0x400, v69
	ds_write2_b32 v69, v5, v2 offset1:160
	ds_write2_b32 v24, v1, v39 offset0:64 offset1:224
	s_waitcnt lgkmcnt(0)
	s_barrier
	ds_read_b32 v54, v49 offset:11840
	ds_read2st64_b32 v[5:6], v49 offset1:10
	ds_read2_b32 v[34:35], v79 offset1:200
	ds_read2_b32 v[30:31], v80 offset1:240
	;; [unrolled: 1-line block ×4, first 2 shown]
	ds_read2_b32 v[32:33], v77 offset0:8 offset1:208
	ds_read2_b32 v[13:14], v78 offset0:8 offset1:208
	v_cmp_gt_u32_e64 s[6:7], 40, v0
	v_add_u32_e32 v75, 0x320, v50
	v_add_u32_e32 v72, 0x640, v50
                                        ; implicit-def: $vgpr10
                                        ; implicit-def: $vgpr27
	s_and_saveexec_b64 s[10:11], s[6:7]
	s_cbranch_execz .LBB0_4
; %bb.3:
	v_add_u32_e32 v9, 0x60, v49
	ds_read_b32 v39, v72
	ds_read2st64_b32 v[26:27], v9 offset0:19 offset1:29
	ds_read2st64_b32 v[9:10], v9 offset0:39 offset1:49
.LBB0_4:
	s_or_b64 exec, exec, s[10:11]
	v_mul_f32_e32 v4, v22, v4
	v_fmac_f32_e32 v4, v41, v3
	v_mul_f32_e32 v3, v23, v8
	v_mul_f32_e32 v12, v25, v12
	v_fmac_f32_e32 v3, v42, v7
	v_mul_f32_e32 v7, v20, v16
	v_fmac_f32_e32 v12, v40, v11
	v_fmac_f32_e32 v7, v36, v15
	v_sub_f32_e32 v8, v55, v12
	v_sub_f32_e32 v4, v37, v4
	;; [unrolled: 1-line block ×4, first 2 shown]
	v_fma_f32 v11, v55, 2.0, -v8
	v_fma_f32 v12, v58, 2.0, -v60
	;; [unrolled: 1-line block ×7, first 2 shown]
	v_sub_f32_e32 v12, v11, v12
	v_add_f32_e32 v15, v8, v59
	v_fma_f32 v20, v56, 2.0, -v66
	v_add_f32_e32 v22, v4, v65
	v_sub_f32_e32 v21, v23, v21
	v_add_f32_e32 v25, v3, v70
	v_sub_f32_e32 v37, v36, v37
	v_fma_f32 v11, v11, 2.0, -v12
	v_fma_f32 v8, v8, 2.0, -v15
	v_sub_f32_e32 v20, v16, v20
	v_fma_f32 v4, v4, 2.0, -v22
	v_fma_f32 v23, v23, 2.0, -v21
	;; [unrolled: 1-line block ×4, first 2 shown]
	v_add_f32_e32 v38, v7, v74
	v_fma_f32 v16, v16, 2.0, -v20
	v_fma_f32 v7, v7, 2.0, -v38
	s_waitcnt lgkmcnt(0)
	s_barrier
	ds_write2_b32 v61, v11, v8 offset1:160
	ds_write2_b32 v62, v12, v15 offset0:64 offset1:224
	ds_write2_b32 v63, v16, v4 offset1:160
	ds_write2_b32 v64, v20, v22 offset0:64 offset1:224
	;; [unrolled: 2-line block ×4, first 2 shown]
	s_waitcnt lgkmcnt(0)
	s_barrier
	ds_read2st64_b32 v[3:4], v49 offset1:10
	ds_read2_b32 v[36:37], v79 offset1:200
	ds_read2_b32 v[22:23], v80 offset1:240
	;; [unrolled: 1-line block ×3, first 2 shown]
	ds_read_b32 v41, v50
	ds_read2_b32 v[24:25], v77 offset0:8 offset1:208
	ds_read2_b32 v[11:12], v78 offset0:8 offset1:208
	ds_read_b32 v40, v75
	ds_read_b32 v42, v49 offset:11840
                                        ; implicit-def: $vgpr8
                                        ; implicit-def: $vgpr16
	s_and_saveexec_b64 s[10:11], s[6:7]
	s_cbranch_execz .LBB0_6
; %bb.5:
	v_add_u32_e32 v7, 0x60, v49
	ds_read_b32 v38, v72
	ds_read2st64_b32 v[15:16], v7 offset0:19 offset1:29
	ds_read2st64_b32 v[7:8], v7 offset0:39 offset1:49
.LBB0_6:
	s_or_b64 exec, exec, s[10:11]
	v_and_b32_e32 v49, 60, v53
	v_lshlrev_b32_e32 v53, 3, v49
	v_and_b32_e32 v49, 0x7c, v52
	global_load_dwordx4 v[55:58], v53, s[14:15] offset:240
	v_lshlrev_b32_e32 v71, 3, v49
	global_load_dwordx4 v[49:52], v71, s[14:15] offset:240
	v_and_b32_e32 v59, 0x7c, v48
	v_lshlrev_b32_e32 v72, 3, v59
	global_load_dwordx4 v[59:62], v72, s[14:15] offset:240
	v_and_b32_e32 v63, 0x7c, v47
	v_lshlrev_b32_e32 v73, 3, v63
	global_load_dwordx4 v[63:66], v53, s[14:15] offset:256
	global_load_dwordx4 v[67:70], v71, s[14:15] offset:256
	s_load_dwordx2 s[4:5], s[4:5], 0x8
	v_or_b32_e32 v79, 32, v46
	v_or_b32_e32 v80, 64, v46
	;; [unrolled: 1-line block ×3, first 2 shown]
	s_mov_b32 s11, 0x20000
	s_mov_b32 s10, -2
	s_movk_i32 s6, 0x80
	s_waitcnt vmcnt(4) lgkmcnt(0)
	v_mul_f32_e32 v53, v4, v56
	v_mul_f32_e32 v71, v6, v56
	;; [unrolled: 1-line block ×4, first 2 shown]
	v_fma_f32 v6, v6, v55, -v53
	v_fmac_f32_e32 v71, v4, v55
	v_fma_f32 v4, v34, v57, -v56
	v_fmac_f32_e32 v74, v36, v57
	s_waitcnt vmcnt(3)
	v_mul_f32_e32 v34, v24, v50
	v_mul_f32_e32 v53, v32, v50
	;; [unrolled: 1-line block ×4, first 2 shown]
	global_load_dwordx4 v[55:58], v72, s[14:15] offset:256
	v_fma_f32 v72, v35, v51, -v36
	v_fma_f32 v32, v32, v49, -v34
	v_fmac_f32_e32 v53, v24, v49
	v_fmac_f32_e32 v75, v37, v51
	global_load_dwordx4 v[34:37], v73, s[14:15] offset:240
	global_load_dwordx4 v[49:52], v73, s[14:15] offset:256
	s_waitcnt vmcnt(5)
	v_mul_f32_e32 v24, v25, v60
	v_mul_f32_e32 v60, v33, v60
	v_fmac_f32_e32 v60, v25, v59
	v_mul_f32_e32 v25, v22, v62
	v_fma_f32 v24, v33, v59, -v24
	v_mul_f32_e32 v59, v30, v62
	v_fma_f32 v30, v30, v61, -v25
	s_waitcnt vmcnt(4)
	v_mul_f32_e32 v25, v31, v64
	v_fmac_f32_e32 v59, v22, v61
	v_mul_f32_e32 v22, v23, v64
	v_mul_f32_e32 v33, v20, v66
	v_fmac_f32_e32 v25, v23, v63
	s_waitcnt vmcnt(3)
	v_mul_f32_e32 v23, v21, v70
	v_mul_f32_e32 v61, v28, v66
	v_fma_f32 v22, v31, v63, -v22
	v_mul_f32_e32 v31, v11, v68
	v_mul_f32_e32 v62, v13, v68
	;; [unrolled: 1-line block ×3, first 2 shown]
	v_fma_f32 v33, v28, v65, -v33
	v_fma_f32 v23, v29, v69, -v23
	;; [unrolled: 1-line block ×3, first 2 shown]
	v_fmac_f32_e32 v62, v11, v67
	v_fmac_f32_e32 v61, v20, v65
	;; [unrolled: 1-line block ×3, first 2 shown]
	s_waitcnt vmcnt(2)
	v_mul_f32_e32 v64, v42, v58
	v_mul_f32_e32 v20, v12, v56
	;; [unrolled: 1-line block ×4, first 2 shown]
	v_fma_f32 v14, v14, v55, -v20
	s_waitcnt vmcnt(1)
	v_mul_f32_e32 v65, v15, v35
	s_waitcnt vmcnt(0)
	v_mul_f32_e32 v28, v9, v50
	v_mul_f32_e32 v29, v10, v52
	;; [unrolled: 1-line block ×4, first 2 shown]
	v_fmac_f32_e32 v28, v7, v49
	v_fmac_f32_e32 v29, v8, v51
	v_add_f32_e32 v7, v5, v6
	v_add_f32_e32 v8, v4, v22
	v_mul_f32_e32 v66, v26, v35
	v_fma_f32 v35, v54, v57, -v64
	v_fma_f32 v54, v9, v49, -v11
	v_add_f32_e32 v7, v7, v4
	v_fma_f32 v9, -0.5, v8, v5
	v_fmac_f32_e32 v56, v12, v55
	v_fmac_f32_e32 v58, v42, v57
	v_fma_f32 v42, v26, v34, -v65
	v_fma_f32 v55, v10, v51, -v31
	v_sub_f32_e32 v10, v71, v61
	v_add_f32_e32 v7, v7, v22
	v_mov_b32_e32 v65, v9
	v_add_f32_e32 v64, v7, v33
	v_fmac_f32_e32 v65, 0x3f737871, v10
	v_sub_f32_e32 v7, v74, v25
	v_sub_f32_e32 v8, v6, v4
	;; [unrolled: 1-line block ×3, first 2 shown]
	v_fmac_f32_e32 v9, 0xbf737871, v10
	v_fmac_f32_e32 v65, 0x3f167918, v7
	v_add_f32_e32 v8, v8, v11
	v_fmac_f32_e32 v9, 0xbf167918, v7
	v_fmac_f32_e32 v65, 0x3e9e377a, v8
	;; [unrolled: 1-line block ×3, first 2 shown]
	v_add_f32_e32 v8, v6, v33
	v_fmac_f32_e32 v5, -0.5, v8
	v_mov_b32_e32 v67, v5
	v_fmac_f32_e32 v67, 0xbf737871, v7
	v_fmac_f32_e32 v5, 0x3f737871, v7
	v_add_f32_e32 v7, v3, v71
	v_add_f32_e32 v7, v7, v74
	;; [unrolled: 1-line block ×5, first 2 shown]
	v_sub_f32_e32 v8, v4, v6
	v_sub_f32_e32 v11, v22, v33
	v_fma_f32 v12, -0.5, v7, v3
	v_fmac_f32_e32 v67, 0x3f167918, v10
	v_add_f32_e32 v8, v8, v11
	v_fmac_f32_e32 v5, 0xbf167918, v10
	v_sub_f32_e32 v6, v6, v33
	v_mov_b32_e32 v69, v12
	v_fmac_f32_e32 v67, 0x3e9e377a, v8
	v_fmac_f32_e32 v5, 0x3e9e377a, v8
	;; [unrolled: 1-line block ×3, first 2 shown]
	v_sub_f32_e32 v4, v4, v22
	v_sub_f32_e32 v7, v71, v74
	;; [unrolled: 1-line block ×3, first 2 shown]
	v_fmac_f32_e32 v12, 0x3f737871, v6
	v_fmac_f32_e32 v69, 0xbf167918, v4
	v_add_f32_e32 v7, v7, v8
	v_fmac_f32_e32 v12, 0x3f167918, v4
	v_fmac_f32_e32 v69, 0x3e9e377a, v7
	;; [unrolled: 1-line block ×3, first 2 shown]
	v_add_f32_e32 v7, v71, v61
	v_fmac_f32_e32 v3, -0.5, v7
	v_mov_b32_e32 v70, v3
	v_fmac_f32_e32 v70, 0x3f737871, v4
	v_fmac_f32_e32 v3, 0xbf737871, v4
	v_add_f32_e32 v4, v1, v32
	v_add_f32_e32 v4, v4, v72
	v_mul_f32_e32 v21, v16, v37
	v_add_f32_e32 v4, v4, v13
	v_fma_f32 v52, v27, v36, -v21
	v_add_f32_e32 v21, v4, v23
	v_add_f32_e32 v4, v72, v13
	v_fmac_f32_e32 v70, 0xbf167918, v6
	v_sub_f32_e32 v7, v74, v71
	v_sub_f32_e32 v8, v25, v61
	v_fmac_f32_e32 v3, 0x3f167918, v6
	v_fma_f32 v6, -0.5, v4, v1
	v_add_f32_e32 v7, v7, v8
	v_sub_f32_e32 v4, v53, v63
	v_mov_b32_e32 v20, v6
	v_fmac_f32_e32 v70, 0x3e9e377a, v7
	v_fmac_f32_e32 v3, 0x3e9e377a, v7
	;; [unrolled: 1-line block ×3, first 2 shown]
	v_sub_f32_e32 v8, v75, v62
	v_sub_f32_e32 v7, v32, v72
	;; [unrolled: 1-line block ×3, first 2 shown]
	v_fmac_f32_e32 v6, 0xbf737871, v4
	v_fmac_f32_e32 v20, 0x3f167918, v8
	v_add_f32_e32 v7, v7, v10
	v_fmac_f32_e32 v6, 0xbf167918, v8
	v_fmac_f32_e32 v20, 0x3e9e377a, v7
	;; [unrolled: 1-line block ×3, first 2 shown]
	v_add_f32_e32 v7, v32, v23
	v_fma_f32 v7, -0.5, v7, v1
	v_mov_b32_e32 v25, v7
	v_fmac_f32_e32 v25, 0xbf737871, v8
	v_sub_f32_e32 v1, v72, v32
	v_sub_f32_e32 v10, v13, v23
	v_fmac_f32_e32 v7, 0x3f737871, v8
	v_fmac_f32_e32 v25, 0x3f167918, v4
	v_add_f32_e32 v1, v1, v10
	v_fmac_f32_e32 v7, 0xbf167918, v4
	v_fmac_f32_e32 v25, 0x3e9e377a, v1
	v_fmac_f32_e32 v7, 0x3e9e377a, v1
	v_add_f32_e32 v1, v41, v53
	v_add_f32_e32 v1, v1, v75
	;; [unrolled: 1-line block ×5, first 2 shown]
	v_fma_f32 v8, -0.5, v1, v41
	v_sub_f32_e32 v1, v32, v23
	v_mov_b32_e32 v73, v8
	v_fmac_f32_e32 v73, 0xbf737871, v1
	v_sub_f32_e32 v4, v72, v13
	v_sub_f32_e32 v10, v53, v75
	;; [unrolled: 1-line block ×3, first 2 shown]
	v_fmac_f32_e32 v8, 0x3f737871, v1
	v_fmac_f32_e32 v73, 0xbf167918, v4
	v_add_f32_e32 v10, v10, v11
	v_fmac_f32_e32 v8, 0x3f167918, v4
	v_fmac_f32_e32 v73, 0x3e9e377a, v10
	;; [unrolled: 1-line block ×3, first 2 shown]
	v_add_f32_e32 v10, v53, v63
	v_fmac_f32_e32 v41, -0.5, v10
	v_mov_b32_e32 v72, v41
	v_fmac_f32_e32 v72, 0x3f737871, v4
	v_fmac_f32_e32 v41, 0xbf737871, v4
	;; [unrolled: 1-line block ×4, first 2 shown]
	v_add_f32_e32 v1, v2, v24
	v_add_f32_e32 v1, v1, v30
	;; [unrolled: 1-line block ×5, first 2 shown]
	v_sub_f32_e32 v10, v75, v53
	v_sub_f32_e32 v11, v62, v63
	v_fma_f32 v1, -0.5, v1, v2
	v_mul_f32_e32 v37, v27, v37
	v_add_f32_e32 v10, v10, v11
	v_sub_f32_e32 v4, v60, v58
	v_mov_b32_e32 v11, v1
	v_fmac_f32_e32 v66, v15, v34
	v_fmac_f32_e32 v37, v16, v36
	;; [unrolled: 1-line block ×5, first 2 shown]
	v_sub_f32_e32 v15, v59, v56
	v_sub_f32_e32 v10, v24, v30
	;; [unrolled: 1-line block ×3, first 2 shown]
	v_fmac_f32_e32 v1, 0xbf737871, v4
	v_fmac_f32_e32 v11, 0x3f167918, v15
	v_add_f32_e32 v10, v10, v16
	v_fmac_f32_e32 v1, 0xbf167918, v15
	v_fmac_f32_e32 v11, 0x3e9e377a, v10
	;; [unrolled: 1-line block ×3, first 2 shown]
	v_add_f32_e32 v10, v24, v35
	v_fmac_f32_e32 v2, -0.5, v10
	v_mov_b32_e32 v10, v2
	v_fmac_f32_e32 v10, 0xbf737871, v15
	v_sub_f32_e32 v16, v30, v24
	v_sub_f32_e32 v22, v14, v35
	v_fmac_f32_e32 v2, 0x3f737871, v15
	v_mul_lo_u32 v26, v19, v43
	v_fmac_f32_e32 v10, 0x3f167918, v4
	v_add_f32_e32 v16, v16, v22
	v_fmac_f32_e32 v2, 0xbf167918, v4
	v_fmac_f32_e32 v10, 0x3e9e377a, v16
	;; [unrolled: 1-line block ×3, first 2 shown]
	v_add_f32_e32 v4, v40, v60
	v_sub_f32_e32 v16, v24, v35
	v_sub_f32_e32 v15, v60, v59
	;; [unrolled: 1-line block ×3, first 2 shown]
	v_add_f32_e32 v4, v4, v59
	v_add_f32_e32 v24, v15, v24
	v_mov_b32_e32 v15, 3
	v_add_f32_e32 v4, v4, v56
	v_lshlrev_b32_sdwa v27, v15, v26 dst_sel:DWORD dst_unused:UNUSED_PAD src0_sel:DWORD src1_sel:BYTE_0
	v_add_f32_e32 v23, v4, v58
	v_add_f32_e32 v4, v59, v56
	v_sub_f32_e32 v14, v30, v14
	v_lshlrev_b32_sdwa v26, v15, v26 dst_sel:DWORD dst_unused:UNUSED_PAD src0_sel:DWORD src1_sel:BYTE_1
	v_or_b32_e32 v30, 32, v43
	global_load_dwordx2 v[31:32], v27, s[4:5]
	global_load_dwordx2 v[33:34], v26, s[4:5] offset:2048
	v_fma_f32 v4, -0.5, v4, v40
	v_mul_lo_u32 v30, v19, v30
	v_mov_b32_e32 v22, v4
	v_fmac_f32_e32 v22, 0xbf737871, v16
	v_fmac_f32_e32 v4, 0x3f737871, v16
	;; [unrolled: 1-line block ×6, first 2 shown]
	v_lshlrev_b32_sdwa v24, v15, v30 dst_sel:DWORD dst_unused:UNUSED_PAD src0_sel:DWORD src1_sel:BYTE_0
	v_lshlrev_b32_sdwa v26, v15, v30 dst_sel:DWORD dst_unused:UNUSED_PAD src0_sel:DWORD src1_sel:BYTE_1
	global_load_dwordx2 v[35:36], v24, s[4:5]
	global_load_dwordx2 v[49:50], v26, s[4:5] offset:2048
	v_add_f32_e32 v24, v60, v58
	v_fmac_f32_e32 v40, -0.5, v24
	v_mov_b32_e32 v30, v40
	v_fmac_f32_e32 v30, 0x3f737871, v14
	v_fmac_f32_e32 v40, 0xbf737871, v14
	v_add_f32_e32 v14, v39, v42
	v_add_f32_e32 v14, v14, v52
	v_sub_f32_e32 v24, v59, v60
	v_sub_f32_e32 v26, v56, v58
	v_add_f32_e32 v14, v14, v54
	v_add_f32_e32 v24, v24, v26
	;; [unrolled: 1-line block ×4, first 2 shown]
	v_fmac_f32_e32 v30, 0xbf167918, v16
	v_fmac_f32_e32 v40, 0x3f167918, v16
	v_fma_f32 v14, -0.5, v14, v39
	v_fmac_f32_e32 v30, 0x3e9e377a, v24
	v_fmac_f32_e32 v40, 0x3e9e377a, v24
	v_sub_f32_e32 v16, v66, v29
	v_mov_b32_e32 v24, v14
	v_fmac_f32_e32 v24, 0x3f737871, v16
	v_sub_f32_e32 v51, v37, v28
	v_sub_f32_e32 v27, v42, v52
	;; [unrolled: 1-line block ×3, first 2 shown]
	v_fmac_f32_e32 v14, 0xbf737871, v16
	v_fmac_f32_e32 v24, 0x3f167918, v51
	v_add_f32_e32 v27, v27, v53
	v_fmac_f32_e32 v14, 0xbf167918, v51
	v_fmac_f32_e32 v24, 0x3e9e377a, v27
	;; [unrolled: 1-line block ×3, first 2 shown]
	v_add_f32_e32 v27, v42, v55
	v_fmac_f32_e32 v39, -0.5, v27
	v_mov_b32_e32 v27, v39
	v_fmac_f32_e32 v27, 0xbf737871, v51
	v_fmac_f32_e32 v39, 0x3f737871, v51
	v_or_b32_e32 v51, 64, v43
	v_mul_lo_u32 v51, v19, v51
	v_sub_f32_e32 v53, v52, v42
	v_sub_f32_e32 v56, v54, v55
	v_fmac_f32_e32 v27, 0x3f167918, v16
	v_add_f32_e32 v53, v53, v56
	v_fmac_f32_e32 v39, 0xbf167918, v16
	v_fmac_f32_e32 v27, 0x3e9e377a, v53
	;; [unrolled: 1-line block ×3, first 2 shown]
	v_sub_f32_e32 v74, v42, v55
	v_sub_f32_e32 v42, v52, v54
	;; [unrolled: 1-line block ×4, first 2 shown]
	v_lshlrev_b32_sdwa v55, v15, v51 dst_sel:DWORD dst_unused:UNUSED_PAD src0_sel:DWORD src1_sel:BYTE_0
	v_or_b32_e32 v57, 0x60, v43
	v_add_f32_e32 v16, v38, v66
	v_add_f32_e32 v59, v52, v53
	v_lshlrev_b32_sdwa v56, v15, v51 dst_sel:DWORD dst_unused:UNUSED_PAD src0_sel:DWORD src1_sel:BYTE_1
	global_load_dwordx2 v[51:52], v55, s[4:5]
	global_load_dwordx2 v[53:54], v56, s[4:5] offset:2048
	v_mul_lo_u32 v55, v19, v57
	v_add_f32_e32 v61, v16, v37
	v_add_f32_e32 v16, v37, v28
	v_fma_f32 v16, -0.5, v16, v38
	v_mov_b32_e32 v77, v16
	v_fmac_f32_e32 v77, 0xbf737871, v74
	v_fmac_f32_e32 v16, 0x3f737871, v74
	v_lshlrev_b32_sdwa v60, v15, v55 dst_sel:DWORD dst_unused:UNUSED_PAD src0_sel:DWORD src1_sel:BYTE_0
	v_fmac_f32_e32 v77, 0xbf167918, v42
	v_fmac_f32_e32 v16, 0x3f167918, v42
	v_lshlrev_b32_sdwa v62, v15, v55 dst_sel:DWORD dst_unused:UNUSED_PAD src0_sel:DWORD src1_sel:BYTE_1
	global_load_dwordx2 v[55:56], v60, s[4:5]
	global_load_dwordx2 v[57:58], v62, s[4:5] offset:2048
	v_fmac_f32_e32 v77, 0x3e9e377a, v59
	v_fmac_f32_e32 v16, 0x3e9e377a, v59
	v_add_f32_e32 v59, v66, v29
	v_fmac_f32_e32 v38, -0.5, v59
	s_waitcnt vmcnt(6)
	v_mul_f32_e32 v59, v32, v34
	v_fma_f32 v62, v31, v33, -v59
	v_mul_f32_e32 v59, v31, v34
	v_or_b32_e32 v31, 0x80, v43
	v_mul_lo_u32 v31, v19, v31
	v_fmac_f32_e32 v59, v32, v33
	v_sub_f32_e32 v37, v37, v66
	v_add_f32_e32 v61, v61, v28
	v_lshlrev_b32_sdwa v60, v15, v31 dst_sel:DWORD dst_unused:UNUSED_PAD src0_sel:DWORD src1_sel:BYTE_0
	s_waitcnt vmcnt(4)
	v_mul_f32_e32 v32, v36, v50
	v_fma_f32 v63, v35, v49, -v32
	v_lshlrev_b32_sdwa v66, v15, v31 dst_sel:DWORD dst_unused:UNUSED_PAD src0_sel:DWORD src1_sel:BYTE_1
	global_load_dwordx2 v[31:32], v60, s[4:5]
	global_load_dwordx2 v[33:34], v66, s[4:5] offset:2048
	v_mul_f32_e32 v66, v35, v50
	v_fmac_f32_e32 v66, v36, v49
	v_mul_lo_u32 v49, v19, v46
	v_mul_f32_e32 v35, v68, v59
	v_fma_f32 v35, v64, v62, -v35
	v_mul_f32_e32 v36, v64, v59
	v_lshlrev_b32_sdwa v64, v15, v49 dst_sel:DWORD dst_unused:UNUSED_PAD src0_sel:DWORD src1_sel:BYTE_0
	v_lshlrev_b32_sdwa v75, v15, v49 dst_sel:DWORD dst_unused:UNUSED_PAD src0_sel:DWORD src1_sel:BYTE_1
	global_load_dwordx2 v[49:50], v64, s[4:5]
	global_load_dwordx2 v[59:60], v75, s[4:5] offset:2048
	v_add_f32_e32 v78, v61, v29
	v_sub_f32_e32 v75, v28, v29
	v_mul_f32_e32 v28, v69, v66
	v_fma_f32 v28, v65, v63, -v28
	v_mul_f32_e32 v29, v65, v66
	v_fmac_f32_e32 v36, v68, v62
	v_fmac_f32_e32 v29, v69, v63
	v_or_b32_e32 v46, 0x80, v46
	v_mov_b32_e32 v82, v38
	v_fmac_f32_e32 v82, 0x3f737871, v42
	v_fmac_f32_e32 v38, 0xbf737871, v42
	;; [unrolled: 1-line block ×4, first 2 shown]
	v_add_f32_e32 v37, v37, v75
	v_fmac_f32_e32 v82, 0x3e9e377a, v37
	v_fmac_f32_e32 v38, 0x3e9e377a, v37
	s_waitcnt vmcnt(6)
	v_mul_f32_e32 v61, v52, v54
	v_mul_f32_e32 v54, v51, v54
	v_fmac_f32_e32 v54, v52, v53
	v_fma_f32 v61, v51, v53, -v61
	v_mul_f32_e32 v51, v70, v54
	v_mul_f32_e32 v52, v67, v54
	v_fma_f32 v51, v67, v61, -v51
	v_fmac_f32_e32 v52, v70, v61
	s_waitcnt vmcnt(4)
	v_mul_f32_e32 v53, v56, v58
	v_fma_f32 v61, v55, v57, -v53
	v_mul_f32_e32 v54, v55, v58
	v_mul_lo_u32 v55, v19, v79
	v_fmac_f32_e32 v54, v56, v57
	v_mul_f32_e32 v53, v3, v54
	v_mul_f32_e32 v54, v5, v54
	v_fmac_f32_e32 v54, v3, v61
	v_lshlrev_b32_sdwa v3, v15, v55 dst_sel:DWORD dst_unused:UNUSED_PAD src0_sel:DWORD src1_sel:BYTE_0
	v_fma_f32 v53, v5, v61, -v53
	v_lshlrev_b32_sdwa v5, v15, v55 dst_sel:DWORD dst_unused:UNUSED_PAD src0_sel:DWORD src1_sel:BYTE_1
	global_load_dwordx2 v[55:56], v3, s[4:5]
	global_load_dwordx2 v[57:58], v5, s[4:5] offset:2048
	v_mul_lo_u32 v3, v19, v80
	s_waitcnt vmcnt(4)
	v_mul_f32_e32 v5, v32, v34
	v_fma_f32 v5, v31, v33, -v5
	v_mul_f32_e32 v65, v31, v34
	v_lshlrev_b32_sdwa v31, v15, v3 dst_sel:DWORD dst_unused:UNUSED_PAD src0_sel:DWORD src1_sel:BYTE_0
	v_lshlrev_b32_sdwa v3, v15, v3 dst_sel:DWORD dst_unused:UNUSED_PAD src0_sel:DWORD src1_sel:BYTE_1
	global_load_dwordx2 v[61:62], v31, s[4:5]
	global_load_dwordx2 v[63:64], v3, s[4:5] offset:2048
	v_mul_lo_u32 v3, v19, v81
	v_fmac_f32_e32 v65, v32, v33
	s_waitcnt vmcnt(4)
	v_mul_f32_e32 v31, v50, v60
	v_fma_f32 v69, v49, v59, -v31
	v_mul_f32_e32 v68, v49, v60
	v_lshlrev_b32_sdwa v49, v15, v3 dst_sel:DWORD dst_unused:UNUSED_PAD src0_sel:DWORD src1_sel:BYTE_0
	v_lshlrev_b32_sdwa v3, v15, v3 dst_sel:DWORD dst_unused:UNUSED_PAD src0_sel:DWORD src1_sel:BYTE_1
	global_load_dwordx2 v[31:32], v49, s[4:5]
	global_load_dwordx2 v[33:34], v3, s[4:5] offset:2048
	v_mul_lo_u32 v3, v19, v46
	v_mul_f32_e32 v49, v12, v65
	v_fmac_f32_e32 v68, v50, v59
	v_fma_f32 v49, v9, v5, -v49
	v_mul_f32_e32 v50, v9, v65
	v_lshlrev_b32_sdwa v9, v15, v3 dst_sel:DWORD dst_unused:UNUSED_PAD src0_sel:DWORD src1_sel:BYTE_0
	v_lshlrev_b32_sdwa v3, v15, v3 dst_sel:DWORD dst_unused:UNUSED_PAD src0_sel:DWORD src1_sel:BYTE_1
	global_load_dwordx2 v[59:60], v9, s[4:5]
	global_load_dwordx2 v[65:66], v3, s[4:5] offset:2048
	v_fmac_f32_e32 v50, v12, v5
	v_mul_f32_e32 v3, v71, v68
	v_fma_f32 v67, v21, v69, -v3
	v_mul_f32_e32 v68, v21, v68
	v_fmac_f32_e32 v68, v71, v69
	s_waitcnt vmcnt(6)
	v_mul_f32_e32 v5, v55, v58
	v_mul_f32_e32 v3, v56, v58
	v_fmac_f32_e32 v5, v56, v57
	v_fma_f32 v3, v55, v57, -v3
	v_mul_f32_e32 v9, v73, v5
	v_mul_f32_e32 v56, v20, v5
	v_fma_f32 v55, v20, v3, -v9
	v_fmac_f32_e32 v56, v73, v3
	v_and_b32_e32 v73, 31, v44
	s_waitcnt vmcnt(4)
	v_mul_f32_e32 v5, v61, v64
	v_mul_f32_e32 v3, v62, v64
	v_fmac_f32_e32 v5, v62, v63
	v_fma_f32 v3, v61, v63, -v3
	v_mul_f32_e32 v9, v72, v5
	v_fma_f32 v20, v25, v3, -v9
	v_and_b32_e32 v9, 31, v45
	v_mul_f32_e32 v21, v25, v5
	v_mul_lo_u32 v5, v19, v9
	v_or_b32_e32 v25, 32, v9
	v_mul_lo_u32 v25, v19, v25
	v_fmac_f32_e32 v21, v72, v3
	v_lshlrev_b32_sdwa v12, v15, v5 dst_sel:DWORD dst_unused:UNUSED_PAD src0_sel:DWORD src1_sel:BYTE_0
	v_lshlrev_b32_sdwa v5, v15, v5 dst_sel:DWORD dst_unused:UNUSED_PAD src0_sel:DWORD src1_sel:BYTE_1
	s_waitcnt vmcnt(2)
	v_mul_f32_e32 v3, v32, v34
	global_load_dwordx2 v[57:58], v12, s[4:5]
	global_load_dwordx2 v[61:62], v5, s[4:5] offset:2048
	v_mul_f32_e32 v5, v31, v34
	v_lshlrev_b32_sdwa v42, v15, v25 dst_sel:DWORD dst_unused:UNUSED_PAD src0_sel:DWORD src1_sel:BYTE_0
	v_lshlrev_b32_sdwa v25, v15, v25 dst_sel:DWORD dst_unused:UNUSED_PAD src0_sel:DWORD src1_sel:BYTE_1
	v_fma_f32 v3, v31, v33, -v3
	v_fmac_f32_e32 v5, v32, v33
	global_load_dwordx2 v[31:32], v42, s[4:5]
	global_load_dwordx2 v[33:34], v25, s[4:5] offset:2048
	v_or_b32_e32 v25, 64, v9
	v_mul_lo_u32 v25, v19, v25
	s_waitcnt vmcnt(4)
	v_mul_f32_e32 v12, v60, v66
	v_mul_f32_e32 v42, v59, v66
	v_fma_f32 v12, v59, v65, -v12
	v_fmac_f32_e32 v42, v60, v65
	v_lshlrev_b32_sdwa v65, v15, v25 dst_sel:DWORD dst_unused:UNUSED_PAD src0_sel:DWORD src1_sel:BYTE_0
	v_lshlrev_b32_sdwa v25, v15, v25 dst_sel:DWORD dst_unused:UNUSED_PAD src0_sel:DWORD src1_sel:BYTE_1
	global_load_dwordx2 v[59:60], v65, s[4:5]
	global_load_dwordx2 v[63:64], v25, s[4:5] offset:2048
	v_or_b32_e32 v25, 0x60, v9
	v_mul_lo_u32 v25, v19, v25
	v_mul_f32_e32 v65, v41, v5
	v_mul_f32_e32 v66, v7, v5
	v_fma_f32 v65, v7, v3, -v65
	v_lshlrev_b32_sdwa v5, v15, v25 dst_sel:DWORD dst_unused:UNUSED_PAD src0_sel:DWORD src1_sel:BYTE_0
	v_lshlrev_b32_sdwa v7, v15, v25 dst_sel:DWORD dst_unused:UNUSED_PAD src0_sel:DWORD src1_sel:BYTE_1
	global_load_dwordx2 v[69:70], v5, s[4:5]
	global_load_dwordx2 v[71:72], v7, s[4:5] offset:2048
	v_fmac_f32_e32 v66, v41, v3
	v_mul_f32_e32 v3, v8, v42
	v_fma_f32 v5, v6, v12, -v3
	v_mul_f32_e32 v6, v6, v42
	v_fmac_f32_e32 v6, v8, v12
	v_or_b32_e32 v9, 0x80, v9
	s_waitcnt vmcnt(6)
	v_mul_f32_e32 v8, v57, v62
	v_mul_f32_e32 v3, v58, v62
	v_fmac_f32_e32 v8, v58, v61
	v_fma_f32 v3, v57, v61, -v3
	v_mul_f32_e32 v7, v23, v8
	v_fma_f32 v7, v13, v3, -v7
	v_mul_f32_e32 v8, v13, v8
	s_waitcnt vmcnt(4)
	v_mul_f32_e32 v13, v31, v34
	v_fmac_f32_e32 v8, v23, v3
	v_mul_f32_e32 v3, v32, v34
	v_fmac_f32_e32 v13, v32, v33
	v_fma_f32 v3, v31, v33, -v3
	v_mul_f32_e32 v12, v22, v13
	v_mul_f32_e32 v13, v11, v13
	v_mul_lo_u32 v23, v19, v9
	v_fma_f32 v12, v11, v3, -v12
	v_fmac_f32_e32 v13, v22, v3
	s_waitcnt vmcnt(2)
	v_mul_f32_e32 v3, v60, v64
	v_fma_f32 v11, v59, v63, -v3
	v_mul_f32_e32 v3, v59, v64
	v_fmac_f32_e32 v3, v60, v63
	v_mul_lo_u32 v34, v19, v73
	v_mul_f32_e32 v22, v30, v3
	v_lshlrev_b32_sdwa v25, v15, v23 dst_sel:DWORD dst_unused:UNUSED_PAD src0_sel:DWORD src1_sel:BYTE_0
	v_lshlrev_b32_sdwa v33, v15, v23 dst_sel:DWORD dst_unused:UNUSED_PAD src0_sel:DWORD src1_sel:BYTE_1
	v_fma_f32 v9, v10, v11, -v22
	global_load_dwordx2 v[22:23], v25, s[4:5]
	global_load_dwordx2 v[31:32], v33, s[4:5] offset:2048
	v_or_b32_e32 v33, 32, v73
	v_mul_lo_u32 v59, v19, v33
	v_lshlrev_b32_sdwa v57, v15, v34 dst_sel:DWORD dst_unused:UNUSED_PAD src0_sel:DWORD src1_sel:BYTE_0
	v_mul_f32_e32 v10, v10, v3
	s_waitcnt vmcnt(2)
	v_mul_f32_e32 v3, v70, v72
	v_lshlrev_b32_sdwa v58, v15, v34 dst_sel:DWORD dst_unused:UNUSED_PAD src0_sel:DWORD src1_sel:BYTE_1
	global_load_dwordx2 v[33:34], v57, s[4:5]
	global_load_dwordx2 v[41:42], v58, s[4:5] offset:2048
	v_or_b32_e32 v57, 64, v73
	v_fma_f32 v25, v69, v71, -v3
	v_mul_f32_e32 v3, v69, v72
	v_mul_lo_u32 v64, v19, v57
	v_fmac_f32_e32 v3, v70, v71
	v_lshlrev_b32_sdwa v62, v15, v59 dst_sel:DWORD dst_unused:UNUSED_PAD src0_sel:DWORD src1_sel:BYTE_0
	v_mul_f32_e32 v61, v40, v3
	v_lshlrev_b32_sdwa v63, v15, v59 dst_sel:DWORD dst_unused:UNUSED_PAD src0_sel:DWORD src1_sel:BYTE_1
	global_load_dwordx2 v[57:58], v62, s[4:5]
	global_load_dwordx2 v[59:60], v63, s[4:5] offset:2048
	v_fma_f32 v61, v2, v25, -v61
	v_mul_f32_e32 v62, v2, v3
	v_or_b32_e32 v2, 0x60, v73
	v_lshlrev_b32_sdwa v69, v15, v64 dst_sel:DWORD dst_unused:UNUSED_PAD src0_sel:DWORD src1_sel:BYTE_0
	v_mul_lo_u32 v71, v19, v2
	v_lshlrev_b32_sdwa v70, v15, v64 dst_sel:DWORD dst_unused:UNUSED_PAD src0_sel:DWORD src1_sel:BYTE_1
	global_load_dwordx2 v[2:3], v69, s[4:5]
	global_load_dwordx2 v[63:64], v70, s[4:5] offset:2048
	v_or_b32_e32 v69, 0x80, v73
	v_mul_lo_u32 v19, v19, v69
	v_lshlrev_b32_sdwa v74, v15, v71 dst_sel:DWORD dst_unused:UNUSED_PAD src0_sel:DWORD src1_sel:BYTE_0
	v_lshlrev_b32_sdwa v75, v15, v71 dst_sel:DWORD dst_unused:UNUSED_PAD src0_sel:DWORD src1_sel:BYTE_1
	global_load_dwordx2 v[69:70], v74, s[4:5]
	global_load_dwordx2 v[71:72], v75, s[4:5] offset:2048
	v_fmac_f32_e32 v10, v30, v11
	v_lshlrev_b32_sdwa v11, v15, v19 dst_sel:DWORD dst_unused:UNUSED_PAD src0_sel:DWORD src1_sel:BYTE_0
	v_lshlrev_b32_sdwa v15, v15, v19 dst_sel:DWORD dst_unused:UNUSED_PAD src0_sel:DWORD src1_sel:BYTE_1
	global_load_dwordx2 v[73:74], v11, s[4:5]
	global_load_dwordx2 v[75:76], v15, s[4:5] offset:2048
	v_fmac_f32_e32 v62, v40, v25
	s_movk_i32 s4, 0x27f
	v_cmp_lt_u32_e64 s[4:5], s4, v0
	s_waitcnt vmcnt(10)
	v_mul_f32_e32 v15, v22, v32
	v_mul_f32_e32 v11, v23, v32
	v_fmac_f32_e32 v15, v23, v31
	v_fma_f32 v11, v22, v31, -v11
	v_mul_f32_e32 v23, v1, v15
	v_mul_f32_e32 v19, v4, v15
	v_fmac_f32_e32 v23, v4, v11
	s_waitcnt vmcnt(8)
	v_mul_f32_e32 v4, v33, v42
	v_fma_f32 v22, v1, v11, -v19
	v_mul_f32_e32 v1, v34, v42
	v_fmac_f32_e32 v4, v34, v41
	v_fma_f32 v1, v33, v41, -v1
	v_mul_f32_e32 v11, v78, v4
	v_fma_f32 v25, v26, v1, -v11
	v_mul_f32_e32 v26, v26, v4
	v_fmac_f32_e32 v26, v78, v1
	s_waitcnt vmcnt(6)
	v_mul_f32_e32 v4, v57, v60
	v_mul_f32_e32 v1, v58, v60
	v_fmac_f32_e32 v4, v58, v59
	v_fma_f32 v1, v57, v59, -v1
	v_mul_f32_e32 v11, v77, v4
	v_mul_f32_e32 v31, v24, v4
	v_fma_f32 v30, v24, v1, -v11
	v_fmac_f32_e32 v31, v77, v1
	s_waitcnt vmcnt(4)
	v_mul_f32_e32 v1, v3, v64
	v_fma_f32 v4, v2, v63, -v1
	v_mul_f32_e32 v2, v2, v64
	v_fmac_f32_e32 v2, v3, v63
	v_mov_b32_e32 v24, 0xa0
	v_mul_f32_e32 v1, v82, v2
	v_mul_f32_e32 v2, v27, v2
	v_cndmask_b32_e64 v24, 0, v24, s[4:5]
	v_fma_f32 v1, v27, v4, -v1
	v_fmac_f32_e32 v2, v82, v4
	s_waitcnt vmcnt(2)
	v_mul_f32_e32 v4, v69, v72
	v_or_b32_e32 v24, v43, v24
	v_mul_f32_e32 v3, v70, v72
	v_fmac_f32_e32 v4, v70, v71
	v_mul_lo_u32 v27, s12, v24
	v_fma_f32 v11, v69, v71, -v3
	v_mul_f32_e32 v3, v38, v4
	v_mul_f32_e32 v4, v39, v4
	s_waitcnt vmcnt(0)
	v_mul_f32_e32 v15, v73, v76
	v_fma_f32 v3, v39, v11, -v3
	v_fmac_f32_e32 v4, v38, v11
	v_mul_f32_e32 v11, v74, v76
	v_fmac_f32_e32 v15, v74, v75
	v_fma_f32 v11, v73, v75, -v11
	v_mul_f32_e32 v19, v16, v15
	v_mul_f32_e32 v33, v14, v15
	v_fma_f32 v32, v14, v11, -v19
	v_fmac_f32_e32 v33, v16, v11
	v_add_lshl_u32 v11, v17, v27, 3
	v_cndmask_b32_e64 v11, -1, v11, s[2:3]
	v_add_u32_e32 v14, 32, v24
	buffer_store_dwordx2 v[35:36], v11, s[8:11], s13 offen
	v_or_b32_e32 v11, 64, v24
	v_mul_lo_u32 v14, s12, v14
	v_mul_lo_u32 v11, s12, v11
	v_cmp_gt_u32_e64 s[4:5], 40, v0
	v_add_lshl_u32 v14, v17, v14, 3
	v_add_lshl_u32 v11, v17, v11, 3
	v_cndmask_b32_e64 v14, -1, v14, s[2:3]
	v_cndmask_b32_e64 v11, -1, v11, s[2:3]
	buffer_store_dwordx2 v[28:29], v14, s[8:11], s13 offen
	v_add_u32_e32 v14, 0x60, v24
	buffer_store_dwordx2 v[51:52], v11, s[8:11], s13 offen
	v_add_u32_e32 v11, 0x80, v24
	v_mul_lo_u32 v14, s12, v14
	v_mul_lo_u32 v11, s12, v11
	v_add_lshl_u32 v14, v17, v14, 3
	v_add_lshl_u32 v11, v17, v11, 3
	v_cndmask_b32_e64 v14, -1, v14, s[2:3]
	v_cndmask_b32_e64 v11, -1, v11, s[2:3]
	buffer_store_dwordx2 v[53:54], v14, s[8:11], s13 offen
	buffer_store_dwordx2 v[49:50], v11, s[8:11], s13 offen
	v_mul_lo_u32 v11, s12, v79
	v_add_lshl_u32 v14, v17, v18, 3
	v_cndmask_b32_e64 v14, -1, v14, s[2:3]
	buffer_store_dwordx2 v[67:68], v14, s[8:11], s13 offen
	v_add_lshl_u32 v11, v17, v11, 3
	v_mul_lo_u32 v14, s12, v80
	v_cndmask_b32_e64 v11, -1, v11, s[2:3]
	buffer_store_dwordx2 v[55:56], v11, s[8:11], s13 offen
	v_mul_lo_u32 v11, s12, v81
	v_add_lshl_u32 v14, v17, v14, 3
	v_cndmask_b32_e64 v14, -1, v14, s[2:3]
	buffer_store_dwordx2 v[20:21], v14, s[8:11], s13 offen
	v_add_lshl_u32 v11, v17, v11, 3
	v_cndmask_b32_e64 v11, -1, v11, s[2:3]
	v_mul_lo_u32 v14, s12, v46
	buffer_store_dwordx2 v[65:66], v11, s[8:11], s13 offen
	v_and_or_b32 v11, v48, s6, v45
	v_mul_lo_u32 v15, s12, v11
	v_add_lshl_u32 v14, v17, v14, 3
	v_cndmask_b32_e64 v14, -1, v14, s[2:3]
	buffer_store_dwordx2 v[5:6], v14, s[8:11], s13 offen
	v_add_lshl_u32 v5, v17, v15, 3
	v_cndmask_b32_e64 v5, -1, v5, s[2:3]
	v_add_u32_e32 v6, 32, v11
	buffer_store_dwordx2 v[7:8], v5, s[8:11], s13 offen
	v_or_b32_e32 v5, 64, v11
	v_mul_lo_u32 v6, s12, v6
	v_mul_lo_u32 v5, s12, v5
	v_cndmask_b32_e64 v7, 0, 1, s[0:1]
	v_add_lshl_u32 v6, v17, v6, 3
	v_add_lshl_u32 v5, v17, v5, 3
	v_cndmask_b32_e64 v6, -1, v6, s[2:3]
	v_cndmask_b32_e64 v5, -1, v5, s[2:3]
	buffer_store_dwordx2 v[12:13], v6, s[8:11], s13 offen
	v_add_u32_e32 v6, 0x60, v11
	buffer_store_dwordx2 v[9:10], v5, s[8:11], s13 offen
	v_add_u32_e32 v5, 0x80, v11
	v_mul_lo_u32 v6, s12, v6
	v_mul_lo_u32 v5, s12, v5
	v_add_lshl_u32 v6, v17, v6, 3
	v_add_lshl_u32 v5, v17, v5, 3
	v_cndmask_b32_e64 v6, -1, v6, s[2:3]
	v_cndmask_b32_e64 v5, -1, v5, s[2:3]
	buffer_store_dwordx2 v[61:62], v6, s[8:11], s13 offen
	buffer_store_dwordx2 v[22:23], v5, s[8:11], s13 offen
	v_and_or_b32 v5, v47, s6, v44
	v_mul_lo_u32 v6, s12, v5
	v_cmp_lt_u32_e64 s[2:3], 39, v0
	v_cndmask_b32_e64 v0, 0, 1, s[4:5]
	s_or_b64 vcc, s[2:3], vcc
	v_cndmask_b32_e32 v0, v7, v0, vcc
	v_and_b32_e32 v0, 1, v0
	v_add_lshl_u32 v6, v17, v6, 3
	v_cmp_eq_u32_e32 vcc, 1, v0
	v_cndmask_b32_e32 v0, -1, v6, vcc
	v_add_u32_e32 v6, 32, v5
	buffer_store_dwordx2 v[25:26], v0, s[8:11], s13 offen
	v_or_b32_e32 v0, 64, v5
	v_mul_lo_u32 v6, s12, v6
	v_mul_lo_u32 v0, s12, v0
	v_add_lshl_u32 v6, v17, v6, 3
	v_add_lshl_u32 v0, v17, v0, 3
	v_cndmask_b32_e32 v6, -1, v6, vcc
	v_cndmask_b32_e32 v0, -1, v0, vcc
	buffer_store_dwordx2 v[30:31], v6, s[8:11], s13 offen
	v_add_u32_e32 v6, 0x60, v5
	buffer_store_dwordx2 v[1:2], v0, s[8:11], s13 offen
	v_add_u32_e32 v0, 0x80, v5
	v_mul_lo_u32 v6, s12, v6
	v_mul_lo_u32 v0, s12, v0
	v_add_lshl_u32 v1, v17, v6, 3
	v_add_lshl_u32 v0, v17, v0, 3
	v_cndmask_b32_e32 v1, -1, v1, vcc
	v_cndmask_b32_e32 v0, -1, v0, vcc
	buffer_store_dwordx2 v[3:4], v1, s[8:11], s13 offen
	buffer_store_dwordx2 v[32:33], v0, s[8:11], s13 offen
	s_endpgm
	.section	.rodata,"a",@progbits
	.p2align	6, 0x0
	.amdhsa_kernel fft_rtc_fwd_len160_factors_2_4_4_5_wgs_200_tpt_10_halfLds_dim2_sp_ip_CI_sbcc_twdbase8_2step_dirReg_intrinsicReadWrite
		.amdhsa_group_segment_fixed_size 0
		.amdhsa_private_segment_fixed_size 0
		.amdhsa_kernarg_size 88
		.amdhsa_user_sgpr_count 6
		.amdhsa_user_sgpr_private_segment_buffer 1
		.amdhsa_user_sgpr_dispatch_ptr 0
		.amdhsa_user_sgpr_queue_ptr 0
		.amdhsa_user_sgpr_kernarg_segment_ptr 1
		.amdhsa_user_sgpr_dispatch_id 0
		.amdhsa_user_sgpr_flat_scratch_init 0
		.amdhsa_user_sgpr_private_segment_size 0
		.amdhsa_uses_dynamic_stack 0
		.amdhsa_system_sgpr_private_segment_wavefront_offset 0
		.amdhsa_system_sgpr_workgroup_id_x 1
		.amdhsa_system_sgpr_workgroup_id_y 0
		.amdhsa_system_sgpr_workgroup_id_z 0
		.amdhsa_system_sgpr_workgroup_info 0
		.amdhsa_system_vgpr_workitem_id 0
		.amdhsa_next_free_vgpr 83
		.amdhsa_next_free_sgpr 23
		.amdhsa_reserve_vcc 1
		.amdhsa_reserve_flat_scratch 0
		.amdhsa_float_round_mode_32 0
		.amdhsa_float_round_mode_16_64 0
		.amdhsa_float_denorm_mode_32 3
		.amdhsa_float_denorm_mode_16_64 3
		.amdhsa_dx10_clamp 1
		.amdhsa_ieee_mode 1
		.amdhsa_fp16_overflow 0
		.amdhsa_exception_fp_ieee_invalid_op 0
		.amdhsa_exception_fp_denorm_src 0
		.amdhsa_exception_fp_ieee_div_zero 0
		.amdhsa_exception_fp_ieee_overflow 0
		.amdhsa_exception_fp_ieee_underflow 0
		.amdhsa_exception_fp_ieee_inexact 0
		.amdhsa_exception_int_div_zero 0
	.end_amdhsa_kernel
	.text
.Lfunc_end0:
	.size	fft_rtc_fwd_len160_factors_2_4_4_5_wgs_200_tpt_10_halfLds_dim2_sp_ip_CI_sbcc_twdbase8_2step_dirReg_intrinsicReadWrite, .Lfunc_end0-fft_rtc_fwd_len160_factors_2_4_4_5_wgs_200_tpt_10_halfLds_dim2_sp_ip_CI_sbcc_twdbase8_2step_dirReg_intrinsicReadWrite
                                        ; -- End function
	.section	.AMDGPU.csdata,"",@progbits
; Kernel info:
; codeLenInByte = 8836
; NumSgprs: 27
; NumVgprs: 83
; ScratchSize: 0
; MemoryBound: 0
; FloatMode: 240
; IeeeMode: 1
; LDSByteSize: 0 bytes/workgroup (compile time only)
; SGPRBlocks: 3
; VGPRBlocks: 20
; NumSGPRsForWavesPerEU: 27
; NumVGPRsForWavesPerEU: 83
; Occupancy: 3
; WaveLimiterHint : 0
; COMPUTE_PGM_RSRC2:SCRATCH_EN: 0
; COMPUTE_PGM_RSRC2:USER_SGPR: 6
; COMPUTE_PGM_RSRC2:TRAP_HANDLER: 0
; COMPUTE_PGM_RSRC2:TGID_X_EN: 1
; COMPUTE_PGM_RSRC2:TGID_Y_EN: 0
; COMPUTE_PGM_RSRC2:TGID_Z_EN: 0
; COMPUTE_PGM_RSRC2:TIDIG_COMP_CNT: 0
	.type	__hip_cuid_b01b453f565ae5b5,@object ; @__hip_cuid_b01b453f565ae5b5
	.section	.bss,"aw",@nobits
	.globl	__hip_cuid_b01b453f565ae5b5
__hip_cuid_b01b453f565ae5b5:
	.byte	0                               ; 0x0
	.size	__hip_cuid_b01b453f565ae5b5, 1

	.ident	"AMD clang version 19.0.0git (https://github.com/RadeonOpenCompute/llvm-project roc-6.4.0 25133 c7fe45cf4b819c5991fe208aaa96edf142730f1d)"
	.section	".note.GNU-stack","",@progbits
	.addrsig
	.addrsig_sym __hip_cuid_b01b453f565ae5b5
	.amdgpu_metadata
---
amdhsa.kernels:
  - .args:
      - .actual_access:  read_only
        .address_space:  global
        .offset:         0
        .size:           8
        .value_kind:     global_buffer
      - .address_space:  global
        .offset:         8
        .size:           8
        .value_kind:     global_buffer
      - .actual_access:  read_only
        .address_space:  global
        .offset:         16
        .size:           8
        .value_kind:     global_buffer
      - .actual_access:  read_only
        .address_space:  global
        .offset:         24
        .size:           8
        .value_kind:     global_buffer
      - .offset:         32
        .size:           8
        .value_kind:     by_value
      - .actual_access:  read_only
        .address_space:  global
        .offset:         40
        .size:           8
        .value_kind:     global_buffer
      - .actual_access:  read_only
        .address_space:  global
        .offset:         48
        .size:           8
        .value_kind:     global_buffer
      - .offset:         56
        .size:           4
        .value_kind:     by_value
      - .actual_access:  read_only
        .address_space:  global
        .offset:         64
        .size:           8
        .value_kind:     global_buffer
      - .actual_access:  read_only
        .address_space:  global
        .offset:         72
        .size:           8
        .value_kind:     global_buffer
      - .address_space:  global
        .offset:         80
        .size:           8
        .value_kind:     global_buffer
    .group_segment_fixed_size: 0
    .kernarg_segment_align: 8
    .kernarg_segment_size: 88
    .language:       OpenCL C
    .language_version:
      - 2
      - 0
    .max_flat_workgroup_size: 200
    .name:           fft_rtc_fwd_len160_factors_2_4_4_5_wgs_200_tpt_10_halfLds_dim2_sp_ip_CI_sbcc_twdbase8_2step_dirReg_intrinsicReadWrite
    .private_segment_fixed_size: 0
    .sgpr_count:     27
    .sgpr_spill_count: 0
    .symbol:         fft_rtc_fwd_len160_factors_2_4_4_5_wgs_200_tpt_10_halfLds_dim2_sp_ip_CI_sbcc_twdbase8_2step_dirReg_intrinsicReadWrite.kd
    .uniform_work_group_size: 1
    .uses_dynamic_stack: false
    .vgpr_count:     83
    .vgpr_spill_count: 0
    .wavefront_size: 64
amdhsa.target:   amdgcn-amd-amdhsa--gfx906
amdhsa.version:
  - 1
  - 2
...

	.end_amdgpu_metadata
